;; amdgpu-corpus repo=zjin-lcf/HeCBench kind=compiled arch=gfx906 opt=O3
	.amdgcn_target "amdgcn-amd-amdhsa--gfx906"
	.amdhsa_code_object_version 6
	.text
	.protected	_Z14kernel_w_blockPKhS0_Pj ; -- Begin function _Z14kernel_w_blockPKhS0_Pj
	.globl	_Z14kernel_w_blockPKhS0_Pj
	.p2align	8
	.type	_Z14kernel_w_blockPKhS0_Pj,@function
_Z14kernel_w_blockPKhS0_Pj:             ; @_Z14kernel_w_blockPKhS0_Pj
; %bb.0:
	s_load_dword s0, s[4:5], 0x24
	s_add_u32 s8, s4, 24
	s_addc_u32 s9, s5, 0
	s_waitcnt lgkmcnt(0)
	s_and_b32 s7, s0, 0xffff
	s_mul_i32 s6, s6, s7
	v_add_u32_e32 v0, s6, v0
	s_mov_b32 s0, 0x100000
	v_cmp_gt_u32_e32 vcc, s0, v0
	s_and_saveexec_b64 s[0:1], vcc
	s_cbranch_execz .LBB0_3
; %bb.1:
	s_load_dword s6, s[8:9], 0x0
	s_load_dwordx4 s[0:3], s[4:5], 0x0
	s_load_dwordx2 s[10:11], s[4:5], 0x10
	v_mov_b32_e32 v1, 0
	v_lshlrev_b64 v[2:3], 8, v[0:1]
	s_mov_b32 s5, 0
	s_waitcnt lgkmcnt(0)
	s_mul_i32 s4, s6, s7
	v_mov_b32_e32 v4, s11
	v_add_co_u32_e32 v22, vcc, s10, v2
	s_lshl_b64 s[6:7], s[4:5], 8
	v_mov_b32_e32 v25, v1
	v_addc_co_u32_e32 v23, vcc, v4, v3, vcc
	s_mov_b64 s[8:9], 0
	s_mov_b32 s5, 0x10203
	v_mov_b32_e32 v26, s7
	s_mov_b64 s[10:11], 0xfffff
	v_mov_b32_e32 v27, 8
	v_mov_b32_e32 v24, v0
.LBB0_2:                                ; =>This Inner Loop Header: Depth=1
	global_load_dwordx4 v[2:5], v1, s[0:1]
	global_load_dwordx4 v[13:16], v1, s[2:3]
	s_waitcnt vmcnt(1)
	v_readfirstlane_b32 s13, v3
	v_readfirstlane_b32 s18, v4
	s_waitcnt vmcnt(0)
	v_readfirstlane_b32 s20, v13
	global_load_dwordx4 v[10:13], v1, s[2:3] offset:16
	global_load_dwordx2 v[3:4], v1, s[2:3] offset:32
	s_lshl_b32 s22, s13, 8
	s_lshr_b32 s14, s13, 24
	s_lshl_b32 s15, s13, 24
	s_and_b32 s22, s22, 0xff0000
	s_bfe_u32 s13, s13, 0x80010
	v_lshlrev_b32_e32 v0, 24, v2
	s_or_b32 s15, s15, s22
	s_lshl_b32 s13, s13, 8
	s_or_b32 s13, s15, s13
	s_or_b32 s15, s13, s14
	s_lshl_b32 s14, s18, 8
	s_lshl_b32 s13, s18, 24
	s_and_b32 s14, s14, 0xff0000
	s_or_b32 s13, s13, s14
	s_bfe_u32 s14, s18, 0x80010
	s_lshl_b32 s14, s14, 8
	s_lshr_b32 s19, s18, 24
	s_or_b32 s13, s13, s14
	s_lshl_b32 s18, s20, 8
	s_or_b32 s14, s13, s19
	s_lshl_b32 s13, s20, 24
	s_and_b32 s18, s18, 0xff0000
	s_or_b32 s13, s13, s18
	s_bfe_u32 s18, s20, 0x80010
	s_lshl_b32 s18, s18, 8
	s_lshr_b32 s21, s20, 24
	s_or_b32 s13, s13, s18
	s_or_b32 s13, s13, s21
	v_mov_b32_e32 v7, s15
	v_mov_b32_e32 v8, s14
	s_waitcnt vmcnt(0)
	v_readfirstlane_b32 s17, v3
	v_lshlrev_b32_e32 v3, 8, v2
	v_and_b32_e32 v3, 0xff0000, v3
	v_or_b32_e32 v0, v0, v3
	v_lshlrev_b32_sdwa v3, v27, v2 dst_sel:DWORD dst_unused:UNUSED_PAD src0_sel:DWORD src1_sel:BYTE_2
	v_or_b32_e32 v0, v0, v3
	v_or_b32_sdwa v6, v0, v2 dst_sel:DWORD dst_unused:UNUSED_PAD src0_sel:DWORD src1_sel:BYTE_3
	v_lshlrev_b32_e32 v2, 8, v5
	v_lshlrev_b32_e32 v0, 24, v5
	v_and_b32_e32 v2, 0xff0000, v2
	v_or_b32_e32 v0, v0, v2
	v_lshlrev_b32_sdwa v2, v27, v5 dst_sel:DWORD dst_unused:UNUSED_PAD src0_sel:DWORD src1_sel:BYTE_2
	v_or_b32_e32 v0, v0, v2
	v_or_b32_sdwa v9, v0, v5 dst_sel:DWORD dst_unused:UNUSED_PAD src0_sel:DWORD src1_sel:BYTE_3
	v_and_b32_e32 v0, 0xffff, v24
	v_alignbit_b32 v2, v25, v24, 8
	v_perm_b32 v0, 0, v0, s5
	v_and_b32_e32 v2, 0xffffff00, v2
	v_lshlrev_b32_e32 v3, 8, v14
	v_add_u32_e32 v0, v0, v2
	v_lshlrev_b32_e32 v2, 24, v14
	v_and_b32_e32 v3, 0xff0000, v3
	v_or_b32_e32 v2, v2, v3
	v_lshlrev_b32_sdwa v3, v27, v14 dst_sel:DWORD dst_unused:UNUSED_PAD src0_sel:DWORD src1_sel:BYTE_2
	v_or_b32_e32 v2, v2, v3
	v_readfirstlane_b32 s16, v4
	v_or_b32_sdwa v3, v2, v14 dst_sel:DWORD dst_unused:UNUSED_PAD src0_sel:DWORD src1_sel:BYTE_3
	v_mov_b32_e32 v2, s13
	v_lshlrev_b32_e32 v4, 8, v15
	global_store_dwordx4 v[22:23], v[0:3], off offset:16
	v_and_b32_e32 v4, 0xff0000, v4
	v_lshlrev_b32_e32 v2, 24, v15
	v_or_b32_e32 v2, v2, v4
	v_lshlrev_b32_sdwa v4, v27, v15 dst_sel:DWORD dst_unused:UNUSED_PAD src0_sel:DWORD src1_sel:BYTE_2
	v_or_b32_e32 v2, v2, v4
	v_lshlrev_b32_e32 v4, 8, v16
	v_or_b32_sdwa v18, v2, v15 dst_sel:DWORD dst_unused:UNUSED_PAD src0_sel:DWORD src1_sel:BYTE_3
	v_lshlrev_b32_e32 v2, 24, v16
	v_and_b32_e32 v4, 0xff0000, v4
	v_or_b32_e32 v2, v2, v4
	v_lshlrev_b32_sdwa v4, v27, v16 dst_sel:DWORD dst_unused:UNUSED_PAD src0_sel:DWORD src1_sel:BYTE_2
	v_or_b32_e32 v2, v2, v4
	v_lshlrev_b32_e32 v4, 8, v10
	v_or_b32_sdwa v19, v2, v16 dst_sel:DWORD dst_unused:UNUSED_PAD src0_sel:DWORD src1_sel:BYTE_3
	v_lshlrev_b32_e32 v2, 24, v10
	v_and_b32_e32 v4, 0xff0000, v4
	;; [unrolled: 7-line block ×4, first 2 shown]
	v_or_b32_e32 v2, v2, v4
	v_lshlrev_b32_sdwa v4, v27, v12 dst_sel:DWORD dst_unused:UNUSED_PAD src0_sel:DWORD src1_sel:BYTE_2
	s_lshl_b32 s19, s17, 8
	s_lshr_b32 s12, s17, 24
	v_or_b32_e32 v2, v2, v4
	v_lshlrev_b32_e32 v4, 8, v13
	s_lshl_b32 s18, s17, 24
	s_and_b32 s19, s19, 0xff0000
	s_bfe_u32 s17, s17, 0x80010
	v_or_b32_sdwa v10, v2, v12 dst_sel:DWORD dst_unused:UNUSED_PAD src0_sel:DWORD src1_sel:BYTE_3
	v_lshlrev_b32_e32 v2, 24, v13
	v_and_b32_e32 v4, 0xff0000, v4
	s_or_b32 s18, s18, s19
	s_lshl_b32 s17, s17, 8
	s_lshl_b32 s19, s16, 8
	s_lshr_b32 s7, s16, 24
	v_or_b32_e32 v2, v2, v4
	v_lshlrev_b32_sdwa v4, v27, v13 dst_sel:DWORD dst_unused:UNUSED_PAD src0_sel:DWORD src1_sel:BYTE_2
	s_or_b32 s17, s18, s17
	s_lshl_b32 s18, s16, 24
	s_and_b32 s19, s19, 0xff0000
	s_bfe_u32 s16, s16, 0x80010
	v_or_b32_e32 v2, v2, v4
	s_or_b32 s18, s18, s19
	s_lshl_b32 s16, s16, 8
	v_alignbit_b32 v4, s15, s15, 7
	v_alignbit_b32 v5, s15, s15, 18
	s_or_b32 s12, s17, s12
	s_or_b32 s16, s18, s16
	v_xor_b32_e32 v4, v4, v5
	s_lshr_b32 s18, s15, 3
	v_or_b32_sdwa v11, v2, v13 dst_sel:DWORD dst_unused:UNUSED_PAD src0_sel:DWORD src1_sel:BYTE_3
	v_add_u32_e32 v2, v6, v19
	v_xor_b32_e32 v4, s18, v4
	v_alignbit_b32 v5, s12, s12, 19
	s_lshr_b32 s17, s17, 10
	v_add_u32_e32 v2, v2, v4
	v_alignbit_b32 v4, s12, s12, 17
	v_xor_b32_e32 v5, s17, v5
	v_xor_b32_e32 v4, v5, v4
	global_store_dwordx4 v[22:23], v[6:9], off
	v_alignbit_b32 v5, s14, s14, 18
	v_add_u32_e32 v6, v2, v4
	v_alignbit_b32 v4, s14, s14, 7
	s_or_b32 s7, s16, s7
	v_add_u32_e32 v2, s15, v20
	v_xor_b32_e32 v4, v4, v5
	s_lshr_b32 s15, s14, 3
	v_xor_b32_e32 v4, s15, v4
	v_alignbit_b32 v5, s7, s7, 19
	s_lshr_b32 s15, s16, 10
	v_add_u32_e32 v2, v2, v4
	v_alignbit_b32 v4, s7, s7, 17
	v_xor_b32_e32 v5, s15, v5
	v_xor_b32_e32 v4, v5, v4
	v_add_u32_e32 v7, v2, v4
	v_alignbit_b32 v4, v9, v9, 7
	v_alignbit_b32 v5, v9, v9, 18
	v_xor_b32_e32 v4, v4, v5
	v_lshrrev_b32_e32 v5, 3, v9
	v_add_u32_e32 v2, s14, v21
	v_xor_b32_e32 v4, v4, v5
	v_add_u32_e32 v2, v2, v4
	v_alignbit_b32 v4, v6, v6, 17
	v_alignbit_b32 v5, v6, v6, 19
	v_mov_b32_e32 v12, s12
	v_mov_b32_e32 v13, s7
	v_xor_b32_e32 v4, v4, v5
	v_lshrrev_b32_e32 v5, 10, v6
	global_store_dwordx4 v[22:23], v[10:13], off offset:48
	v_xor_b32_e32 v4, v4, v5
	v_alignbit_b32 v5, v7, v7, 17
	v_alignbit_b32 v12, v7, v7, 19
	v_xor_b32_e32 v5, v5, v12
	v_lshrrev_b32_e32 v12, 10, v7
	v_xor_b32_e32 v5, v5, v12
	v_add_u32_e32 v8, v2, v4
	v_lshrrev_b32_e32 v2, 7, v0
	v_alignbit_b32 v4, v0, v0, 18
	v_add_u32_e32 v5, v5, v9
	v_xor_b32_e32 v2, v2, v4
	v_lshrrev_b32_e32 v4, 3, v0
	v_add_u32_e32 v5, v5, v10
	v_xad_u32 v9, v2, v4, v5
	v_alignbit_b32 v2, v8, v8, 17
	v_alignbit_b32 v4, v8, v8, 19
	v_xor_b32_e32 v2, v2, v4
	v_lshrrev_b32_e32 v4, 10, v8
	v_xor_b32_e32 v2, v2, v4
	v_add_u32_e32 v2, v2, v11
	v_add_u32_e32 v14, v2, v0
	v_alignbit_b32 v0, s13, s13, 7
	v_alignbit_b32 v2, s13, s13, 18
	v_xor_b32_e32 v0, v0, v2
	s_lshr_b32 s14, s13, 3
	v_xor_b32_e32 v0, s14, v0
	v_alignbit_b32 v2, v9, v9, 17
	v_alignbit_b32 v4, v9, v9, 19
	v_add_u32_e32 v0, s12, v0
	v_xor_b32_e32 v2, v2, v4
	v_lshrrev_b32_e32 v4, 10, v9
	v_xad_u32 v15, v2, v4, v0
	v_alignbit_b32 v0, v3, v3, 7
	v_alignbit_b32 v2, v3, v3, 18
	v_xor_b32_e32 v0, v0, v2
	v_lshrrev_b32_e32 v2, 3, v3
	s_add_i32 s13, s13, s7
	v_xor_b32_e32 v0, v0, v2
	v_alignbit_b32 v2, v14, v14, 17
	v_alignbit_b32 v4, v14, v14, 19
	v_add_u32_e32 v0, s13, v0
	v_xor_b32_e32 v2, v2, v4
	v_lshrrev_b32_e32 v4, 10, v14
	v_xad_u32 v16, v2, v4, v0
	v_alignbit_b32 v0, v18, v18, 7
	v_alignbit_b32 v2, v18, v18, 18
	v_xor_b32_e32 v0, v0, v2
	v_lshrrev_b32_e32 v2, 3, v18
	v_xor_b32_e32 v0, v0, v2
	v_alignbit_b32 v2, v15, v15, 17
	v_alignbit_b32 v4, v15, v15, 19
	v_add_u32_e32 v0, v0, v3
	v_xor_b32_e32 v2, v2, v4
	v_lshrrev_b32_e32 v4, 10, v15
	v_add_u32_e32 v0, v0, v6
	v_xad_u32 v17, v2, v4, v0
	v_alignbit_b32 v0, v19, v19, 7
	v_alignbit_b32 v2, v19, v19, 18
	v_xor_b32_e32 v0, v0, v2
	v_lshrrev_b32_e32 v2, 3, v19
	v_xor_b32_e32 v0, v0, v2
	v_alignbit_b32 v2, v16, v16, 17
	v_alignbit_b32 v3, v16, v16, 19
	v_add_u32_e32 v0, v0, v18
	v_xor_b32_e32 v2, v2, v3
	v_lshrrev_b32_e32 v3, 10, v16
	v_add_u32_e32 v0, v0, v7
	;; [unrolled: 12-line block ×3, first 2 shown]
	v_xad_u32 v3, v3, v4, v0
	v_alignbit_b32 v0, v21, v21, 7
	v_alignbit_b32 v4, v21, v21, 18
	v_xor_b32_e32 v0, v0, v4
	v_lshrrev_b32_e32 v4, 3, v21
	v_xor_b32_e32 v0, v0, v4
	v_alignbit_b32 v4, v2, v2, 17
	v_alignbit_b32 v5, v2, v2, 19
	v_xor_b32_e32 v4, v4, v5
	v_lshrrev_b32_e32 v5, 10, v2
	v_xor_b32_e32 v4, v4, v5
	v_add_u32_e32 v0, v0, v20
	v_add3_u32 v4, v0, v9, v4
	v_alignbit_b32 v0, v10, v10, 7
	v_alignbit_b32 v5, v10, v10, 18
	v_xor_b32_e32 v0, v0, v5
	v_lshrrev_b32_e32 v5, 3, v10
	v_xor_b32_e32 v0, v0, v5
	v_alignbit_b32 v5, v3, v3, 17
	v_alignbit_b32 v12, v3, v3, 19
	v_xor_b32_e32 v5, v5, v12
	v_lshrrev_b32_e32 v12, 10, v3
	v_xor_b32_e32 v5, v5, v12
	v_add_u32_e32 v0, v0, v21
	v_add3_u32 v5, v0, v14, v5
	;; [unrolled: 12-line block ×3, first 2 shown]
	v_alignbit_b32 v0, s12, s12, 7
	v_alignbit_b32 v12, s12, s12, 18
	v_xor_b32_e32 v0, v0, v12
	s_lshr_b32 s13, s12, 3
	v_xor_b32_e32 v12, s13, v0
	v_alignbit_b32 v0, v5, v5, 17
	v_alignbit_b32 v13, v5, v5, 19
	v_xor_b32_e32 v0, v0, v13
	v_lshrrev_b32_e32 v13, 10, v5
	v_xor_b32_e32 v0, v0, v13
	v_add_u32_e32 v11, v12, v11
	v_add3_u32 v11, v11, v16, v0
	v_alignbit_b32 v0, s7, s7, 7
	v_alignbit_b32 v12, s7, s7, 18
	v_xor_b32_e32 v0, v0, v12
	s_lshr_b32 s13, s7, 3
	v_alignbit_b32 v12, v10, v10, 17
	v_alignbit_b32 v13, v10, v10, 19
	v_xor_b32_e32 v0, s13, v0
	v_xor_b32_e32 v12, v12, v13
	v_lshrrev_b32_e32 v13, 10, v10
	v_xor_b32_e32 v12, v12, v13
	v_add_u32_e32 v0, s12, v0
	v_add3_u32 v12, v0, v17, v12
	v_alignbit_b32 v0, v6, v6, 7
	v_alignbit_b32 v13, v6, v6, 18
	v_xor_b32_e32 v0, v0, v13
	v_lshrrev_b32_e32 v13, 3, v6
	global_store_dwordx4 v[22:23], v[18:21], off offset:32
	v_xor_b32_e32 v0, v0, v13
	v_alignbit_b32 v13, v11, v11, 17
	v_alignbit_b32 v18, v11, v11, 19
	v_xor_b32_e32 v13, v13, v18
	v_lshrrev_b32_e32 v18, 10, v11
	v_xor_b32_e32 v13, v13, v18
	v_add_u32_e32 v0, s7, v0
	v_add3_u32 v13, v0, v2, v13
	v_alignbit_b32 v0, v7, v7, 7
	v_alignbit_b32 v18, v7, v7, 18
	v_xor_b32_e32 v0, v0, v18
	v_lshrrev_b32_e32 v18, 3, v7
	v_xor_b32_e32 v0, v0, v18
	v_alignbit_b32 v18, v12, v12, 17
	v_alignbit_b32 v19, v12, v12, 19
	v_xor_b32_e32 v18, v18, v19
	v_lshrrev_b32_e32 v19, 10, v12
	v_xor_b32_e32 v18, v18, v19
	v_add_u32_e32 v0, v0, v6
	global_store_dwordx4 v[22:23], v[6:9], off offset:64
	v_alignbit_b32 v19, v13, v13, 19
	v_add3_u32 v6, v0, v3, v18
	v_alignbit_b32 v0, v8, v8, 7
	v_alignbit_b32 v18, v8, v8, 18
	v_xor_b32_e32 v0, v0, v18
	v_lshrrev_b32_e32 v18, 3, v8
	v_xor_b32_e32 v0, v0, v18
	v_alignbit_b32 v18, v13, v13, 17
	v_xor_b32_e32 v18, v18, v19
	v_lshrrev_b32_e32 v19, 10, v13
	v_xor_b32_e32 v18, v18, v19
	v_add_u32_e32 v0, v0, v7
	v_add3_u32 v7, v0, v4, v18
	v_alignbit_b32 v0, v9, v9, 7
	v_alignbit_b32 v18, v9, v9, 18
	v_alignbit_b32 v19, v6, v6, 17
	v_alignbit_b32 v20, v6, v6, 19
	v_xor_b32_e32 v0, v0, v18
	v_lshrrev_b32_e32 v18, 3, v9
	v_xor_b32_e32 v19, v19, v20
	v_lshrrev_b32_e32 v20, 10, v6
	v_xor_b32_e32 v19, v19, v20
	v_xad_u32 v0, v0, v18, v8
	v_add3_u32 v8, v0, v5, v19
	v_alignbit_b32 v0, v14, v14, 7
	v_alignbit_b32 v18, v14, v14, 18
	v_alignbit_b32 v19, v7, v7, 17
	v_alignbit_b32 v20, v7, v7, 19
	v_xor_b32_e32 v0, v0, v18
	v_lshrrev_b32_e32 v18, 3, v14
	v_xor_b32_e32 v19, v19, v20
	v_lshrrev_b32_e32 v20, 10, v7
	v_xor_b32_e32 v19, v19, v20
	v_xad_u32 v0, v0, v18, v9
	;; [unrolled: 11-line block ×3, first 2 shown]
	global_store_dwordx4 v[22:23], v[14:17], off offset:80
	v_alignbit_b32 v18, v16, v16, 18
	v_add3_u32 v14, v0, v11, v19
	v_alignbit_b32 v0, v16, v16, 7
	v_alignbit_b32 v19, v9, v9, 17
	v_alignbit_b32 v20, v9, v9, 19
	v_xor_b32_e32 v0, v0, v18
	v_lshrrev_b32_e32 v18, 3, v16
	v_xor_b32_e32 v19, v19, v20
	v_lshrrev_b32_e32 v20, 10, v9
	v_xor_b32_e32 v19, v19, v20
	v_xad_u32 v0, v0, v18, v15
	v_add3_u32 v15, v0, v12, v19
	v_alignbit_b32 v0, v17, v17, 7
	v_alignbit_b32 v18, v17, v17, 18
	v_alignbit_b32 v19, v14, v14, 17
	v_alignbit_b32 v20, v14, v14, 19
	v_xor_b32_e32 v0, v0, v18
	v_lshrrev_b32_e32 v18, 3, v17
	v_xor_b32_e32 v19, v19, v20
	v_lshrrev_b32_e32 v20, 10, v14
	v_xor_b32_e32 v19, v19, v20
	v_xad_u32 v0, v0, v18, v16
	v_add3_u32 v16, v0, v13, v19
	v_alignbit_b32 v0, v2, v2, 7
	;; [unrolled: 11-line block ×3, first 2 shown]
	v_alignbit_b32 v18, v3, v3, 18
	v_alignbit_b32 v19, v16, v16, 17
	v_alignbit_b32 v20, v16, v16, 19
	v_xor_b32_e32 v0, v0, v18
	v_lshrrev_b32_e32 v18, 3, v3
	v_xor_b32_e32 v19, v19, v20
	v_lshrrev_b32_e32 v20, 10, v16
	v_xor_b32_e32 v19, v19, v20
	v_xad_u32 v0, v0, v18, v2
	global_store_dwordx4 v[22:23], v[2:5], off offset:96
	v_add3_u32 v18, v0, v7, v19
	v_alignbit_b32 v0, v4, v4, 7
	v_alignbit_b32 v2, v4, v4, 18
	v_alignbit_b32 v19, v17, v17, 17
	v_alignbit_b32 v20, v17, v17, 19
	v_xor_b32_e32 v0, v0, v2
	v_lshrrev_b32_e32 v2, 3, v4
	v_xor_b32_e32 v19, v19, v20
	v_lshrrev_b32_e32 v20, 10, v17
	v_xor_b32_e32 v19, v19, v20
	v_xad_u32 v0, v0, v2, v3
	v_add3_u32 v19, v0, v8, v19
	v_alignbit_b32 v0, v5, v5, 7
	v_alignbit_b32 v2, v5, v5, 18
	v_alignbit_b32 v3, v18, v18, 17
	v_alignbit_b32 v20, v18, v18, 19
	v_xor_b32_e32 v0, v0, v2
	v_lshrrev_b32_e32 v2, 3, v5
	v_xor_b32_e32 v3, v3, v20
	v_lshrrev_b32_e32 v20, 10, v18
	v_xor_b32_e32 v3, v3, v20
	v_xad_u32 v0, v0, v2, v4
	v_add3_u32 v20, v0, v9, v3
	v_alignbit_b32 v0, v10, v10, 7
	v_alignbit_b32 v2, v10, v10, 18
	v_alignbit_b32 v3, v19, v19, 17
	v_alignbit_b32 v4, v19, v19, 19
	v_xor_b32_e32 v0, v0, v2
	v_lshrrev_b32_e32 v2, 3, v10
	v_xor_b32_e32 v3, v3, v4
	v_lshrrev_b32_e32 v4, 10, v19
	v_xor_b32_e32 v3, v3, v4
	v_xad_u32 v0, v0, v2, v5
	v_add3_u32 v21, v0, v14, v3
	v_alignbit_b32 v0, v11, v11, 7
	v_alignbit_b32 v2, v11, v11, 18
	v_alignbit_b32 v3, v20, v20, 17
	v_alignbit_b32 v4, v20, v20, 19
	v_xor_b32_e32 v0, v0, v2
	v_lshrrev_b32_e32 v2, 3, v11
	v_xor_b32_e32 v3, v3, v4
	v_lshrrev_b32_e32 v4, 10, v20
	v_xor_b32_e32 v3, v3, v4
	v_xad_u32 v0, v0, v2, v10
	v_add3_u32 v2, v0, v15, v3
	v_alignbit_b32 v0, v12, v12, 7
	v_alignbit_b32 v3, v12, v12, 18
	v_alignbit_b32 v4, v21, v21, 17
	v_alignbit_b32 v5, v21, v21, 19
	v_xor_b32_e32 v0, v0, v3
	v_lshrrev_b32_e32 v3, 3, v12
	v_xor_b32_e32 v4, v4, v5
	v_lshrrev_b32_e32 v5, 10, v21
	v_xor_b32_e32 v4, v4, v5
	v_xad_u32 v0, v0, v3, v11
	global_store_dwordx4 v[22:23], v[10:13], off offset:112
	v_add3_u32 v3, v0, v16, v4
	v_alignbit_b32 v0, v13, v13, 7
	v_alignbit_b32 v4, v13, v13, 18
	v_alignbit_b32 v5, v2, v2, 17
	v_alignbit_b32 v10, v2, v2, 19
	v_xor_b32_e32 v0, v0, v4
	v_lshrrev_b32_e32 v4, 3, v13
	v_xor_b32_e32 v5, v5, v10
	v_lshrrev_b32_e32 v10, 10, v2
	v_xor_b32_e32 v5, v5, v10
	v_xad_u32 v0, v0, v4, v12
	v_add3_u32 v4, v0, v17, v5
	v_alignbit_b32 v0, v6, v6, 7
	v_alignbit_b32 v5, v6, v6, 18
	v_alignbit_b32 v10, v3, v3, 17
	v_alignbit_b32 v11, v3, v3, 19
	v_xor_b32_e32 v0, v0, v5
	v_lshrrev_b32_e32 v5, 3, v6
	v_xor_b32_e32 v10, v10, v11
	v_lshrrev_b32_e32 v11, 10, v3
	v_xor_b32_e32 v10, v10, v11
	v_xad_u32 v0, v0, v5, v13
	;; [unrolled: 11-line block ×3, first 2 shown]
	global_store_dwordx4 v[22:23], v[6:9], off offset:128
	v_alignbit_b32 v10, v8, v8, 18
	v_add3_u32 v6, v0, v19, v11
	v_alignbit_b32 v0, v8, v8, 7
	v_alignbit_b32 v11, v5, v5, 17
	v_alignbit_b32 v12, v5, v5, 19
	v_xor_b32_e32 v0, v0, v10
	v_lshrrev_b32_e32 v10, 3, v8
	v_xor_b32_e32 v11, v11, v12
	v_lshrrev_b32_e32 v12, 10, v5
	v_xor_b32_e32 v11, v11, v12
	v_xad_u32 v0, v0, v10, v7
	v_add3_u32 v7, v0, v20, v11
	v_alignbit_b32 v0, v9, v9, 7
	v_alignbit_b32 v10, v9, v9, 18
	v_alignbit_b32 v11, v6, v6, 17
	v_alignbit_b32 v12, v6, v6, 19
	v_xor_b32_e32 v0, v0, v10
	v_lshrrev_b32_e32 v10, 3, v9
	v_xor_b32_e32 v11, v11, v12
	v_lshrrev_b32_e32 v12, 10, v6
	v_xor_b32_e32 v11, v11, v12
	v_xad_u32 v0, v0, v10, v8
	v_add3_u32 v8, v0, v21, v11
	v_alignbit_b32 v0, v14, v14, 7
	;; [unrolled: 11-line block ×4, first 2 shown]
	v_alignbit_b32 v11, v16, v16, 18
	v_alignbit_b32 v12, v9, v9, 17
	;; [unrolled: 1-line block ×3, first 2 shown]
	v_xor_b32_e32 v0, v0, v11
	v_lshrrev_b32_e32 v11, 3, v16
	v_xor_b32_e32 v12, v12, v13
	v_lshrrev_b32_e32 v13, 10, v9
	v_xor_b32_e32 v12, v12, v13
	v_xad_u32 v0, v0, v11, v15
	global_store_dwordx4 v[22:23], v[14:17], off offset:144
	v_add3_u32 v11, v0, v4, v12
	v_alignbit_b32 v0, v17, v17, 7
	v_alignbit_b32 v12, v17, v17, 18
	v_alignbit_b32 v13, v10, v10, 17
	v_alignbit_b32 v14, v10, v10, 19
	v_xor_b32_e32 v0, v0, v12
	v_lshrrev_b32_e32 v12, 3, v17
	v_xor_b32_e32 v13, v13, v14
	v_lshrrev_b32_e32 v14, 10, v10
	v_xor_b32_e32 v13, v13, v14
	v_xad_u32 v0, v0, v12, v16
	v_add3_u32 v12, v0, v5, v13
	v_alignbit_b32 v0, v18, v18, 7
	v_alignbit_b32 v13, v18, v18, 18
	v_alignbit_b32 v14, v11, v11, 17
	v_alignbit_b32 v15, v11, v11, 19
	v_xor_b32_e32 v0, v0, v13
	v_lshrrev_b32_e32 v13, 3, v18
	v_xor_b32_e32 v14, v14, v15
	v_lshrrev_b32_e32 v15, 10, v11
	v_xor_b32_e32 v14, v14, v15
	v_xad_u32 v0, v0, v13, v17
	;; [unrolled: 11-line block ×3, first 2 shown]
	global_store_dwordx4 v[22:23], v[6:9], off offset:192
	v_alignbit_b32 v14, v20, v20, 18
	v_add3_u32 v7, v0, v7, v15
	v_alignbit_b32 v0, v20, v20, 7
	v_alignbit_b32 v15, v13, v13, 17
	;; [unrolled: 1-line block ×3, first 2 shown]
	v_xor_b32_e32 v0, v0, v14
	v_lshrrev_b32_e32 v14, 3, v20
	v_xor_b32_e32 v15, v15, v16
	v_lshrrev_b32_e32 v16, 10, v13
	v_xor_b32_e32 v15, v15, v16
	v_xad_u32 v0, v0, v14, v19
	v_add3_u32 v8, v0, v8, v15
	v_alignbit_b32 v0, v21, v21, 7
	v_alignbit_b32 v14, v21, v21, 18
	;; [unrolled: 1-line block ×4, first 2 shown]
	v_xor_b32_e32 v0, v0, v14
	v_lshrrev_b32_e32 v14, 3, v21
	v_xor_b32_e32 v15, v15, v16
	v_lshrrev_b32_e32 v16, 10, v7
	v_xor_b32_e32 v15, v15, v16
	v_xad_u32 v0, v0, v14, v20
	v_add3_u32 v9, v0, v9, v15
	v_alignbit_b32 v0, v2, v2, 7
	v_alignbit_b32 v14, v2, v2, 18
	;; [unrolled: 1-line block ×4, first 2 shown]
	v_xor_b32_e32 v0, v0, v14
	v_lshrrev_b32_e32 v14, 3, v2
	v_xor_b32_e32 v15, v15, v16
	v_lshrrev_b32_e32 v16, 10, v8
	v_xor_b32_e32 v15, v15, v16
	v_xad_u32 v0, v0, v14, v21
	global_store_dwordx4 v[22:23], v[10:13], off offset:208
	v_alignbit_b32 v14, v9, v9, 17
	v_add3_u32 v10, v0, v10, v15
	global_store_dwordx4 v[22:23], v[7:10], off offset:224
	v_alignbit_b32 v0, v3, v3, 7
	v_alignbit_b32 v8, v3, v3, 18
	;; [unrolled: 1-line block ×3, first 2 shown]
	v_xor_b32_e32 v0, v0, v8
	v_lshrrev_b32_e32 v8, 3, v3
	v_xor_b32_e32 v14, v14, v15
	v_lshrrev_b32_e32 v9, 10, v9
	v_xor_b32_e32 v9, v14, v9
	v_xad_u32 v0, v0, v8, v2
	global_store_dwordx4 v[22:23], v[2:5], off offset:176
	v_alignbit_b32 v8, v4, v4, 18
	v_add3_u32 v2, v0, v11, v9
	v_alignbit_b32 v0, v4, v4, 7
	v_alignbit_b32 v9, v10, v10, 17
	;; [unrolled: 1-line block ×3, first 2 shown]
	v_xor_b32_e32 v0, v0, v8
	v_lshrrev_b32_e32 v8, 3, v4
	v_xor_b32_e32 v9, v9, v11
	v_lshrrev_b32_e32 v10, 10, v10
	v_xor_b32_e32 v9, v9, v10
	v_xad_u32 v0, v0, v8, v3
	v_add3_u32 v3, v0, v12, v9
	v_alignbit_b32 v0, v5, v5, 7
	v_alignbit_b32 v8, v5, v5, 18
	;; [unrolled: 1-line block ×4, first 2 shown]
	v_xor_b32_e32 v0, v0, v8
	v_lshrrev_b32_e32 v8, 3, v5
	v_xor_b32_e32 v9, v9, v10
	v_lshrrev_b32_e32 v10, 10, v2
	v_xor_b32_e32 v9, v9, v10
	v_xad_u32 v0, v0, v8, v4
	v_add3_u32 v4, v0, v13, v9
	v_alignbit_b32 v0, v6, v6, 7
	v_alignbit_b32 v8, v6, v6, 18
	v_xor_b32_e32 v0, v0, v8
	v_alignbit_b32 v8, v3, v3, 17
	v_alignbit_b32 v9, v3, v3, 19
	v_lshrrev_b32_e32 v6, 3, v6
	v_xor_b32_e32 v8, v8, v9
	v_lshrrev_b32_e32 v9, 10, v3
	v_xor_b32_e32 v8, v8, v9
	v_xad_u32 v0, v0, v6, v5
	v_add_co_u32_e32 v24, vcc, s4, v24
	v_add3_u32 v5, v0, v7, v8
	v_addc_co_u32_e32 v25, vcc, 0, v25, vcc
	global_store_dwordx4 v[22:23], v[18:21], off offset:160
	global_store_dwordx4 v[22:23], v[2:5], off offset:240
	v_add_co_u32_e32 v22, vcc, s6, v22
	v_addc_co_u32_e32 v23, vcc, v23, v26, vcc
	v_cmp_lt_u64_e32 vcc, s[10:11], v[24:25]
	s_or_b64 s[8:9], vcc, s[8:9]
	s_andn2_b64 exec, exec, s[8:9]
	s_cbranch_execnz .LBB0_2
.LBB0_3:
	s_endpgm
	.section	.rodata,"a",@progbits
	.p2align	6, 0x0
	.amdhsa_kernel _Z14kernel_w_blockPKhS0_Pj
		.amdhsa_group_segment_fixed_size 0
		.amdhsa_private_segment_fixed_size 0
		.amdhsa_kernarg_size 280
		.amdhsa_user_sgpr_count 6
		.amdhsa_user_sgpr_private_segment_buffer 1
		.amdhsa_user_sgpr_dispatch_ptr 0
		.amdhsa_user_sgpr_queue_ptr 0
		.amdhsa_user_sgpr_kernarg_segment_ptr 1
		.amdhsa_user_sgpr_dispatch_id 0
		.amdhsa_user_sgpr_flat_scratch_init 0
		.amdhsa_user_sgpr_private_segment_size 0
		.amdhsa_uses_dynamic_stack 0
		.amdhsa_system_sgpr_private_segment_wavefront_offset 0
		.amdhsa_system_sgpr_workgroup_id_x 1
		.amdhsa_system_sgpr_workgroup_id_y 0
		.amdhsa_system_sgpr_workgroup_id_z 0
		.amdhsa_system_sgpr_workgroup_info 0
		.amdhsa_system_vgpr_workitem_id 0
		.amdhsa_next_free_vgpr 28
		.amdhsa_next_free_sgpr 23
		.amdhsa_reserve_vcc 1
		.amdhsa_reserve_flat_scratch 0
		.amdhsa_float_round_mode_32 0
		.amdhsa_float_round_mode_16_64 0
		.amdhsa_float_denorm_mode_32 3
		.amdhsa_float_denorm_mode_16_64 3
		.amdhsa_dx10_clamp 1
		.amdhsa_ieee_mode 1
		.amdhsa_fp16_overflow 0
		.amdhsa_exception_fp_ieee_invalid_op 0
		.amdhsa_exception_fp_denorm_src 0
		.amdhsa_exception_fp_ieee_div_zero 0
		.amdhsa_exception_fp_ieee_overflow 0
		.amdhsa_exception_fp_ieee_underflow 0
		.amdhsa_exception_fp_ieee_inexact 0
		.amdhsa_exception_int_div_zero 0
	.end_amdhsa_kernel
	.text
.Lfunc_end0:
	.size	_Z14kernel_w_blockPKhS0_Pj, .Lfunc_end0-_Z14kernel_w_blockPKhS0_Pj
                                        ; -- End function
	.set _Z14kernel_w_blockPKhS0_Pj.num_vgpr, 28
	.set _Z14kernel_w_blockPKhS0_Pj.num_agpr, 0
	.set _Z14kernel_w_blockPKhS0_Pj.numbered_sgpr, 23
	.set _Z14kernel_w_blockPKhS0_Pj.num_named_barrier, 0
	.set _Z14kernel_w_blockPKhS0_Pj.private_seg_size, 0
	.set _Z14kernel_w_blockPKhS0_Pj.uses_vcc, 1
	.set _Z14kernel_w_blockPKhS0_Pj.uses_flat_scratch, 0
	.set _Z14kernel_w_blockPKhS0_Pj.has_dyn_sized_stack, 0
	.set _Z14kernel_w_blockPKhS0_Pj.has_recursion, 0
	.set _Z14kernel_w_blockPKhS0_Pj.has_indirect_call, 0
	.section	.AMDGPU.csdata,"",@progbits
; Kernel info:
; codeLenInByte = 4244
; TotalNumSgprs: 27
; NumVgprs: 28
; ScratchSize: 0
; MemoryBound: 0
; FloatMode: 240
; IeeeMode: 1
; LDSByteSize: 0 bytes/workgroup (compile time only)
; SGPRBlocks: 3
; VGPRBlocks: 6
; NumSGPRsForWavesPerEU: 27
; NumVGPRsForWavesPerEU: 28
; Occupancy: 9
; WaveLimiterHint : 0
; COMPUTE_PGM_RSRC2:SCRATCH_EN: 0
; COMPUTE_PGM_RSRC2:USER_SGPR: 6
; COMPUTE_PGM_RSRC2:TRAP_HANDLER: 0
; COMPUTE_PGM_RSRC2:TGID_X_EN: 1
; COMPUTE_PGM_RSRC2:TGID_Y_EN: 0
; COMPUTE_PGM_RSRC2:TGID_Z_EN: 0
; COMPUTE_PGM_RSRC2:TIDIG_COMP_CNT: 0
	.section	.AMDGPU.gpr_maximums,"",@progbits
	.set amdgpu.max_num_vgpr, 0
	.set amdgpu.max_num_agpr, 0
	.set amdgpu.max_num_sgpr, 0
	.section	.AMDGPU.csdata,"",@progbits
	.type	__hip_cuid_a7f68a3d9c97458,@object ; @__hip_cuid_a7f68a3d9c97458
	.section	.bss,"aw",@nobits
	.globl	__hip_cuid_a7f68a3d9c97458
__hip_cuid_a7f68a3d9c97458:
	.byte	0                               ; 0x0
	.size	__hip_cuid_a7f68a3d9c97458, 1

	.ident	"AMD clang version 22.0.0git (https://github.com/RadeonOpenCompute/llvm-project roc-7.2.4 26084 f58b06dce1f9c15707c5f808fd002e18c2accf7e)"
	.section	".note.GNU-stack","",@progbits
	.addrsig
	.addrsig_sym __hip_cuid_a7f68a3d9c97458
	.amdgpu_metadata
---
amdhsa.kernels:
  - .args:
      - .address_space:  global
        .offset:         0
        .size:           8
        .value_kind:     global_buffer
      - .address_space:  global
        .offset:         8
        .size:           8
        .value_kind:     global_buffer
      - .address_space:  global
        .offset:         16
        .size:           8
        .value_kind:     global_buffer
      - .offset:         24
        .size:           4
        .value_kind:     hidden_block_count_x
      - .offset:         28
        .size:           4
        .value_kind:     hidden_block_count_y
      - .offset:         32
        .size:           4
        .value_kind:     hidden_block_count_z
      - .offset:         36
        .size:           2
        .value_kind:     hidden_group_size_x
      - .offset:         38
        .size:           2
        .value_kind:     hidden_group_size_y
      - .offset:         40
        .size:           2
        .value_kind:     hidden_group_size_z
      - .offset:         42
        .size:           2
        .value_kind:     hidden_remainder_x
      - .offset:         44
        .size:           2
        .value_kind:     hidden_remainder_y
      - .offset:         46
        .size:           2
        .value_kind:     hidden_remainder_z
      - .offset:         64
        .size:           8
        .value_kind:     hidden_global_offset_x
      - .offset:         72
        .size:           8
        .value_kind:     hidden_global_offset_y
      - .offset:         80
        .size:           8
        .value_kind:     hidden_global_offset_z
      - .offset:         88
        .size:           2
        .value_kind:     hidden_grid_dims
    .group_segment_fixed_size: 0
    .kernarg_segment_align: 8
    .kernarg_segment_size: 280
    .language:       OpenCL C
    .language_version:
      - 2
      - 0
    .max_flat_workgroup_size: 1024
    .name:           _Z14kernel_w_blockPKhS0_Pj
    .private_segment_fixed_size: 0
    .sgpr_count:     27
    .sgpr_spill_count: 0
    .symbol:         _Z14kernel_w_blockPKhS0_Pj.kd
    .uniform_work_group_size: 1
    .uses_dynamic_stack: false
    .vgpr_count:     28
    .vgpr_spill_count: 0
    .wavefront_size: 64
amdhsa.target:   amdgcn-amd-amdhsa--gfx906
amdhsa.version:
  - 1
  - 2
...

	.end_amdgpu_metadata
